;; amdgpu-corpus repo=ROCm/rocFFT kind=compiled arch=gfx1201 opt=O3
	.text
	.amdgcn_target "amdgcn-amd-amdhsa--gfx1201"
	.amdhsa_code_object_version 6
	.protected	fft_rtc_fwd_len385_factors_11_7_5_wgs_55_tpt_55_half_op_CI_CI_unitstride_sbrr_dirReg ; -- Begin function fft_rtc_fwd_len385_factors_11_7_5_wgs_55_tpt_55_half_op_CI_CI_unitstride_sbrr_dirReg
	.globl	fft_rtc_fwd_len385_factors_11_7_5_wgs_55_tpt_55_half_op_CI_CI_unitstride_sbrr_dirReg
	.p2align	8
	.type	fft_rtc_fwd_len385_factors_11_7_5_wgs_55_tpt_55_half_op_CI_CI_unitstride_sbrr_dirReg,@function
fft_rtc_fwd_len385_factors_11_7_5_wgs_55_tpt_55_half_op_CI_CI_unitstride_sbrr_dirReg: ; @fft_rtc_fwd_len385_factors_11_7_5_wgs_55_tpt_55_half_op_CI_CI_unitstride_sbrr_dirReg
; %bb.0:
	s_clause 0x2
	s_load_b128 s[8:11], s[0:1], 0x0
	s_load_b128 s[4:7], s[0:1], 0x58
	;; [unrolled: 1-line block ×3, first 2 shown]
	v_mul_u32_u24_e32 v1, 0x4a8, v0
	v_mov_b32_e32 v8, 0
	v_mov_b32_e32 v6, 0
	;; [unrolled: 1-line block ×3, first 2 shown]
	s_delay_alu instid0(VALU_DEP_4) | instskip(NEXT) | instid1(VALU_DEP_1)
	v_lshrrev_b32_e32 v1, 16, v1
	v_dual_mov_b32 v11, v8 :: v_dual_add_nc_u32 v10, ttmp9, v1
	s_wait_kmcnt 0x0
	v_cmp_lt_u64_e64 s2, s[10:11], 2
	s_delay_alu instid0(VALU_DEP_1)
	s_and_b32 vcc_lo, exec_lo, s2
	s_cbranch_vccnz .LBB0_8
; %bb.1:
	s_load_b64 s[2:3], s[0:1], 0x10
	v_mov_b32_e32 v6, 0
	v_mov_b32_e32 v7, 0
	s_delay_alu instid0(VALU_DEP_2)
	v_mov_b32_e32 v1, v6
	s_add_nc_u64 s[16:17], s[14:15], 8
	s_add_nc_u64 s[18:19], s[12:13], 8
	s_mov_b64 s[20:21], 1
	v_mov_b32_e32 v2, v7
	s_wait_kmcnt 0x0
	s_add_nc_u64 s[22:23], s[2:3], 8
	s_mov_b32 s3, 0
.LBB0_2:                                ; =>This Inner Loop Header: Depth=1
	s_load_b64 s[24:25], s[22:23], 0x0
                                        ; implicit-def: $vgpr3_vgpr4
	s_mov_b32 s2, exec_lo
	s_wait_kmcnt 0x0
	v_or_b32_e32 v9, s25, v11
	s_delay_alu instid0(VALU_DEP_1)
	v_cmpx_ne_u64_e32 0, v[8:9]
	s_wait_alu 0xfffe
	s_xor_b32 s26, exec_lo, s2
	s_cbranch_execz .LBB0_4
; %bb.3:                                ;   in Loop: Header=BB0_2 Depth=1
	s_cvt_f32_u32 s2, s24
	s_cvt_f32_u32 s27, s25
	s_sub_nc_u64 s[30:31], 0, s[24:25]
	s_wait_alu 0xfffe
	s_delay_alu instid0(SALU_CYCLE_1) | instskip(SKIP_1) | instid1(SALU_CYCLE_2)
	s_fmamk_f32 s2, s27, 0x4f800000, s2
	s_wait_alu 0xfffe
	v_s_rcp_f32 s2, s2
	s_delay_alu instid0(TRANS32_DEP_1) | instskip(SKIP_1) | instid1(SALU_CYCLE_2)
	s_mul_f32 s2, s2, 0x5f7ffffc
	s_wait_alu 0xfffe
	s_mul_f32 s27, s2, 0x2f800000
	s_wait_alu 0xfffe
	s_delay_alu instid0(SALU_CYCLE_2) | instskip(SKIP_1) | instid1(SALU_CYCLE_2)
	s_trunc_f32 s27, s27
	s_wait_alu 0xfffe
	s_fmamk_f32 s2, s27, 0xcf800000, s2
	s_cvt_u32_f32 s29, s27
	s_wait_alu 0xfffe
	s_delay_alu instid0(SALU_CYCLE_1) | instskip(SKIP_1) | instid1(SALU_CYCLE_2)
	s_cvt_u32_f32 s28, s2
	s_wait_alu 0xfffe
	s_mul_u64 s[34:35], s[30:31], s[28:29]
	s_wait_alu 0xfffe
	s_mul_hi_u32 s37, s28, s35
	s_mul_i32 s36, s28, s35
	s_mul_hi_u32 s2, s28, s34
	s_mul_i32 s33, s29, s34
	s_wait_alu 0xfffe
	s_add_nc_u64 s[36:37], s[2:3], s[36:37]
	s_mul_hi_u32 s27, s29, s34
	s_mul_hi_u32 s38, s29, s35
	s_add_co_u32 s2, s36, s33
	s_wait_alu 0xfffe
	s_add_co_ci_u32 s2, s37, s27
	s_mul_i32 s34, s29, s35
	s_add_co_ci_u32 s35, s38, 0
	s_wait_alu 0xfffe
	s_add_nc_u64 s[34:35], s[2:3], s[34:35]
	s_wait_alu 0xfffe
	v_add_co_u32 v3, s2, s28, s34
	s_delay_alu instid0(VALU_DEP_1) | instskip(SKIP_1) | instid1(VALU_DEP_1)
	s_cmp_lg_u32 s2, 0
	s_add_co_ci_u32 s29, s29, s35
	v_readfirstlane_b32 s28, v3
	s_wait_alu 0xfffe
	s_delay_alu instid0(VALU_DEP_1)
	s_mul_u64 s[30:31], s[30:31], s[28:29]
	s_wait_alu 0xfffe
	s_mul_hi_u32 s35, s28, s31
	s_mul_i32 s34, s28, s31
	s_mul_hi_u32 s2, s28, s30
	s_mul_i32 s33, s29, s30
	s_wait_alu 0xfffe
	s_add_nc_u64 s[34:35], s[2:3], s[34:35]
	s_mul_hi_u32 s27, s29, s30
	s_mul_hi_u32 s28, s29, s31
	s_wait_alu 0xfffe
	s_add_co_u32 s2, s34, s33
	s_add_co_ci_u32 s2, s35, s27
	s_mul_i32 s30, s29, s31
	s_add_co_ci_u32 s31, s28, 0
	s_wait_alu 0xfffe
	s_add_nc_u64 s[30:31], s[2:3], s[30:31]
	s_wait_alu 0xfffe
	v_add_co_u32 v5, s2, v3, s30
	s_delay_alu instid0(VALU_DEP_1) | instskip(SKIP_1) | instid1(VALU_DEP_1)
	s_cmp_lg_u32 s2, 0
	s_add_co_ci_u32 s2, s29, s31
	v_mul_hi_u32 v9, v10, v5
	s_wait_alu 0xfffe
	v_mad_co_u64_u32 v[3:4], null, v10, s2, 0
	v_mad_co_u64_u32 v[12:13], null, v11, v5, 0
	;; [unrolled: 1-line block ×3, first 2 shown]
	s_delay_alu instid0(VALU_DEP_3) | instskip(SKIP_1) | instid1(VALU_DEP_4)
	v_add_co_u32 v3, vcc_lo, v9, v3
	s_wait_alu 0xfffd
	v_add_co_ci_u32_e32 v4, vcc_lo, 0, v4, vcc_lo
	s_delay_alu instid0(VALU_DEP_2) | instskip(SKIP_1) | instid1(VALU_DEP_2)
	v_add_co_u32 v3, vcc_lo, v3, v12
	s_wait_alu 0xfffd
	v_add_co_ci_u32_e32 v3, vcc_lo, v4, v13, vcc_lo
	s_wait_alu 0xfffd
	v_add_co_ci_u32_e32 v4, vcc_lo, 0, v15, vcc_lo
	s_delay_alu instid0(VALU_DEP_2) | instskip(SKIP_1) | instid1(VALU_DEP_2)
	v_add_co_u32 v5, vcc_lo, v3, v14
	s_wait_alu 0xfffd
	v_add_co_ci_u32_e32 v9, vcc_lo, 0, v4, vcc_lo
	s_delay_alu instid0(VALU_DEP_2) | instskip(SKIP_1) | instid1(VALU_DEP_3)
	v_mul_lo_u32 v12, s25, v5
	v_mad_co_u64_u32 v[3:4], null, s24, v5, 0
	v_mul_lo_u32 v13, s24, v9
	s_delay_alu instid0(VALU_DEP_2) | instskip(NEXT) | instid1(VALU_DEP_2)
	v_sub_co_u32 v3, vcc_lo, v10, v3
	v_add3_u32 v4, v4, v13, v12
	s_delay_alu instid0(VALU_DEP_1) | instskip(SKIP_1) | instid1(VALU_DEP_1)
	v_sub_nc_u32_e32 v12, v11, v4
	s_wait_alu 0xfffd
	v_subrev_co_ci_u32_e64 v12, s2, s25, v12, vcc_lo
	v_add_co_u32 v13, s2, v5, 2
	s_wait_alu 0xf1ff
	v_add_co_ci_u32_e64 v14, s2, 0, v9, s2
	v_sub_co_u32 v15, s2, v3, s24
	v_sub_co_ci_u32_e32 v4, vcc_lo, v11, v4, vcc_lo
	s_wait_alu 0xf1ff
	v_subrev_co_ci_u32_e64 v12, s2, 0, v12, s2
	s_delay_alu instid0(VALU_DEP_3) | instskip(NEXT) | instid1(VALU_DEP_3)
	v_cmp_le_u32_e32 vcc_lo, s24, v15
	v_cmp_eq_u32_e64 s2, s25, v4
	s_wait_alu 0xfffd
	v_cndmask_b32_e64 v15, 0, -1, vcc_lo
	v_cmp_le_u32_e32 vcc_lo, s25, v12
	s_wait_alu 0xfffd
	v_cndmask_b32_e64 v16, 0, -1, vcc_lo
	v_cmp_le_u32_e32 vcc_lo, s24, v3
	;; [unrolled: 3-line block ×3, first 2 shown]
	s_wait_alu 0xfffd
	v_cndmask_b32_e64 v17, 0, -1, vcc_lo
	v_cmp_eq_u32_e32 vcc_lo, s25, v12
	s_wait_alu 0xf1ff
	s_delay_alu instid0(VALU_DEP_2)
	v_cndmask_b32_e64 v3, v17, v3, s2
	s_wait_alu 0xfffd
	v_cndmask_b32_e32 v12, v16, v15, vcc_lo
	v_add_co_u32 v15, vcc_lo, v5, 1
	s_wait_alu 0xfffd
	v_add_co_ci_u32_e32 v16, vcc_lo, 0, v9, vcc_lo
	s_delay_alu instid0(VALU_DEP_3) | instskip(SKIP_2) | instid1(VALU_DEP_3)
	v_cmp_ne_u32_e32 vcc_lo, 0, v12
	s_wait_alu 0xfffd
	v_cndmask_b32_e32 v12, v15, v13, vcc_lo
	v_cndmask_b32_e32 v4, v16, v14, vcc_lo
	v_cmp_ne_u32_e32 vcc_lo, 0, v3
	s_wait_alu 0xfffd
	s_delay_alu instid0(VALU_DEP_3) | instskip(NEXT) | instid1(VALU_DEP_3)
	v_cndmask_b32_e32 v3, v5, v12, vcc_lo
	v_cndmask_b32_e32 v4, v9, v4, vcc_lo
.LBB0_4:                                ;   in Loop: Header=BB0_2 Depth=1
	s_wait_alu 0xfffe
	s_and_not1_saveexec_b32 s2, s26
	s_cbranch_execz .LBB0_6
; %bb.5:                                ;   in Loop: Header=BB0_2 Depth=1
	v_cvt_f32_u32_e32 v3, s24
	s_sub_co_i32 s26, 0, s24
	s_delay_alu instid0(VALU_DEP_1) | instskip(NEXT) | instid1(TRANS32_DEP_1)
	v_rcp_iflag_f32_e32 v3, v3
	v_mul_f32_e32 v3, 0x4f7ffffe, v3
	s_delay_alu instid0(VALU_DEP_1) | instskip(SKIP_1) | instid1(VALU_DEP_1)
	v_cvt_u32_f32_e32 v3, v3
	s_wait_alu 0xfffe
	v_mul_lo_u32 v4, s26, v3
	s_delay_alu instid0(VALU_DEP_1) | instskip(NEXT) | instid1(VALU_DEP_1)
	v_mul_hi_u32 v4, v3, v4
	v_add_nc_u32_e32 v3, v3, v4
	s_delay_alu instid0(VALU_DEP_1) | instskip(NEXT) | instid1(VALU_DEP_1)
	v_mul_hi_u32 v3, v10, v3
	v_mul_lo_u32 v4, v3, s24
	v_add_nc_u32_e32 v5, 1, v3
	s_delay_alu instid0(VALU_DEP_2) | instskip(NEXT) | instid1(VALU_DEP_1)
	v_sub_nc_u32_e32 v4, v10, v4
	v_subrev_nc_u32_e32 v9, s24, v4
	v_cmp_le_u32_e32 vcc_lo, s24, v4
	s_wait_alu 0xfffd
	s_delay_alu instid0(VALU_DEP_2) | instskip(SKIP_1) | instid1(VALU_DEP_2)
	v_cndmask_b32_e32 v4, v4, v9, vcc_lo
	v_cndmask_b32_e32 v3, v3, v5, vcc_lo
	v_cmp_le_u32_e32 vcc_lo, s24, v4
	s_delay_alu instid0(VALU_DEP_2) | instskip(SKIP_1) | instid1(VALU_DEP_1)
	v_dual_mov_b32 v4, v8 :: v_dual_add_nc_u32 v5, 1, v3
	s_wait_alu 0xfffd
	v_cndmask_b32_e32 v3, v3, v5, vcc_lo
.LBB0_6:                                ;   in Loop: Header=BB0_2 Depth=1
	s_wait_alu 0xfffe
	s_or_b32 exec_lo, exec_lo, s2
	v_mul_lo_u32 v5, v4, s24
	s_delay_alu instid0(VALU_DEP_2)
	v_mul_lo_u32 v9, v3, s25
	s_load_b64 s[26:27], s[18:19], 0x0
	v_mad_co_u64_u32 v[12:13], null, v3, s24, 0
	s_load_b64 s[24:25], s[16:17], 0x0
	s_add_nc_u64 s[20:21], s[20:21], 1
	s_add_nc_u64 s[16:17], s[16:17], 8
	s_wait_alu 0xfffe
	v_cmp_ge_u64_e64 s2, s[20:21], s[10:11]
	s_add_nc_u64 s[18:19], s[18:19], 8
	s_add_nc_u64 s[22:23], s[22:23], 8
	v_add3_u32 v5, v13, v9, v5
	v_sub_co_u32 v9, vcc_lo, v10, v12
	s_wait_alu 0xfffd
	s_delay_alu instid0(VALU_DEP_2) | instskip(SKIP_2) | instid1(VALU_DEP_1)
	v_sub_co_ci_u32_e32 v5, vcc_lo, v11, v5, vcc_lo
	s_and_b32 vcc_lo, exec_lo, s2
	s_wait_kmcnt 0x0
	v_mul_lo_u32 v10, s26, v5
	v_mul_lo_u32 v11, s27, v9
	v_mad_co_u64_u32 v[6:7], null, s26, v9, v[6:7]
	v_mul_lo_u32 v5, s24, v5
	v_mul_lo_u32 v12, s25, v9
	v_mad_co_u64_u32 v[1:2], null, s24, v9, v[1:2]
	s_delay_alu instid0(VALU_DEP_4) | instskip(NEXT) | instid1(VALU_DEP_2)
	v_add3_u32 v7, v11, v7, v10
	v_add3_u32 v2, v12, v2, v5
	s_wait_alu 0xfffe
	s_cbranch_vccnz .LBB0_9
; %bb.7:                                ;   in Loop: Header=BB0_2 Depth=1
	v_dual_mov_b32 v11, v4 :: v_dual_mov_b32 v10, v3
	s_branch .LBB0_2
.LBB0_8:
	v_dual_mov_b32 v1, v6 :: v_dual_mov_b32 v2, v7
	v_dual_mov_b32 v3, v10 :: v_dual_mov_b32 v4, v11
.LBB0_9:
	s_load_b64 s[0:1], s[0:1], 0x28
	v_mul_hi_u32 v8, 0x4a7904b, v0
                                        ; implicit-def: $vgpr5
	s_wait_kmcnt 0x0
	s_delay_alu instid0(VALU_DEP_2) | instskip(SKIP_1) | instid1(VALU_DEP_1)
	v_cmp_gt_u64_e32 vcc_lo, s[0:1], v[3:4]
	v_cmp_le_u64_e64 s0, s[0:1], v[3:4]
	s_and_saveexec_b32 s1, s0
	s_wait_alu 0xfffe
	s_xor_b32 s0, exec_lo, s1
; %bb.10:
	s_delay_alu instid0(VALU_DEP_3) | instskip(NEXT) | instid1(VALU_DEP_1)
	v_mul_u32_u24_e32 v5, 55, v8
                                        ; implicit-def: $vgpr8
                                        ; implicit-def: $vgpr6_vgpr7
	v_sub_nc_u32_e32 v5, v0, v5
                                        ; implicit-def: $vgpr0
; %bb.11:
	s_wait_alu 0xfffe
	s_or_saveexec_b32 s1, s0
	s_lshl_b64 s[2:3], s[10:11], 3
	s_wait_alu 0xfffe
	s_xor_b32 exec_lo, exec_lo, s1
	s_cbranch_execz .LBB0_13
; %bb.12:
	s_add_nc_u64 s[10:11], s[12:13], s[2:3]
	v_lshlrev_b64_e32 v[6:7], 2, v[6:7]
	s_load_b64 s[10:11], s[10:11], 0x0
	s_wait_kmcnt 0x0
	v_mul_lo_u32 v5, s11, v3
	v_mul_lo_u32 v11, s10, v4
	v_mad_co_u64_u32 v[9:10], null, s10, v3, 0
	s_delay_alu instid0(VALU_DEP_1) | instskip(SKIP_1) | instid1(VALU_DEP_2)
	v_add3_u32 v10, v10, v11, v5
	v_mul_u32_u24_e32 v5, 55, v8
	v_lshlrev_b64_e32 v[8:9], 2, v[9:10]
	s_delay_alu instid0(VALU_DEP_2) | instskip(NEXT) | instid1(VALU_DEP_2)
	v_sub_nc_u32_e32 v5, v0, v5
	v_add_co_u32 v0, s0, s4, v8
	s_wait_alu 0xf1ff
	s_delay_alu instid0(VALU_DEP_3) | instskip(NEXT) | instid1(VALU_DEP_3)
	v_add_co_ci_u32_e64 v8, s0, s5, v9, s0
	v_lshlrev_b32_e32 v9, 2, v5
	s_delay_alu instid0(VALU_DEP_3) | instskip(SKIP_1) | instid1(VALU_DEP_3)
	v_add_co_u32 v0, s0, v0, v6
	s_wait_alu 0xf1ff
	v_add_co_ci_u32_e64 v7, s0, v8, v7, s0
	s_delay_alu instid0(VALU_DEP_2) | instskip(SKIP_1) | instid1(VALU_DEP_2)
	v_add_co_u32 v6, s0, v0, v9
	s_wait_alu 0xf1ff
	v_add_co_ci_u32_e64 v7, s0, 0, v7, s0
	s_clause 0x6
	global_load_b32 v0, v[6:7], off
	global_load_b32 v8, v[6:7], off offset:220
	global_load_b32 v10, v[6:7], off offset:440
	;; [unrolled: 1-line block ×6, first 2 shown]
	v_add_nc_u32_e32 v7, 0, v9
	s_delay_alu instid0(VALU_DEP_1)
	v_add_nc_u32_e32 v9, 0x200, v7
	s_wait_loadcnt 0x5
	ds_store_2addr_b32 v7, v0, v8 offset1:55
	s_wait_loadcnt 0x3
	ds_store_2addr_b32 v7, v10, v11 offset0:110 offset1:165
	s_wait_loadcnt 0x1
	ds_store_2addr_b32 v9, v12, v13 offset0:92 offset1:147
	s_wait_loadcnt 0x0
	ds_store_b32 v7, v6 offset:1320
.LBB0_13:
	s_or_b32 exec_lo, exec_lo, s1
	v_lshl_add_u32 v0, v5, 2, 0
	global_wb scope:SCOPE_SE
	s_wait_dscnt 0x0
	s_barrier_signal -1
	s_barrier_wait -1
	global_inv scope:SCOPE_SE
	ds_load_2addr_b32 v[8:9], v0 offset1:35
	ds_load_b32 v28, v0 offset:1400
	v_add_nc_u32_e32 v6, 0x400, v0
	s_add_nc_u64 s[2:3], s[14:15], s[2:3]
	s_mov_b32 s1, exec_lo
	ds_load_2addr_b32 v[16:17], v0 offset0:70 offset1:105
	ds_load_2addr_b32 v[10:11], v6 offset0:24 offset1:59
	ds_load_2addr_b32 v[14:15], v0 offset0:140 offset1:175
	ds_load_2addr_b32 v[12:13], v0 offset0:210 offset1:245
	global_wb scope:SCOPE_SE
	s_wait_dscnt 0x0
	s_barrier_signal -1
	s_barrier_wait -1
	global_inv scope:SCOPE_SE
	v_lshrrev_b32_e32 v35, 16, v8
	v_pk_add_f16 v25, v9, v28 neg_lo:[0,1] neg_hi:[0,1]
	v_pk_add_f16 v22, v28, v9
	v_pk_add_f16 v23, v11, v16
	s_delay_alu instid0(VALU_DEP_3) | instskip(NEXT) | instid1(VALU_DEP_3)
	v_lshrrev_b32_e32 v6, 16, v25
	v_pk_mul_f16 v7, 0x36a6b08e, v22
	v_lshrrev_b32_e32 v49, 16, v22
	v_mul_f16_e32 v38, 0xbbeb, v25
	v_pk_add_f16 v26, v16, v11 neg_lo:[0,1] neg_hi:[0,1]
	v_pk_add_f16 v27, v17, v10 neg_lo:[0,1] neg_hi:[0,1]
	v_mul_f16_e32 v37, 0xbb47, v6
	v_pk_fma_f16 v33, 0xbbebbb47, v25, v7 op_sel:[0,0,1] op_sel_hi:[1,1,0] neg_lo:[0,1,0] neg_hi:[0,1,0]
	v_pk_fma_f16 v34, 0xbbebbb47, v25, v7 op_sel:[0,0,1] op_sel_hi:[1,1,0]
	v_fma_f16 v7, v49, 0xb08e, -v38
	v_lshrrev_b32_e32 v18, 16, v26
	v_lshrrev_b32_e32 v59, 16, v23
	v_mul_f16_e32 v45, 0x3482, v26
	v_mul_f16_e32 v46, 0xba0c, v25
	;; [unrolled: 1-line block ×3, first 2 shown]
	v_lshrrev_b32_e32 v20, 16, v27
	v_fmamk_f16 v21, v22, 0x36a6, v37
	v_add_f16_e32 v7, v35, v7
	v_mul_f16_e32 v39, 0xba0c, v18
	v_fma_f16 v30, v59, 0xbbad, -v45
	v_pk_add_f16 v24, v10, v17
	v_fma_f16 v6, v49, 0xb93d, -v46
	v_mul_f16_e32 v54, 0x3beb, v26
	v_fmamk_f16 v29, v22, 0xb93d, v50
	v_mul_f16_e32 v53, 0x3beb, v18
	v_add_f16_e32 v18, v8, v21
	v_fmamk_f16 v21, v23, 0xb93d, v39
	v_mul_f16_e32 v41, 0x3482, v20
	v_add_f16_e32 v7, v30, v7
	v_pk_add_f16 v30, v14, v13 neg_lo:[0,1] neg_hi:[0,1]
	v_pk_mul_f16 v19, 0xb93dbbad, v23
	v_add_f16_e32 v6, v35, v6
	v_fma_f16 v31, v59, 0xb08e, -v54
	v_add_f16_e32 v29, v8, v29
	v_fmamk_f16 v32, v23, 0xb08e, v53
	v_add_f16_e32 v18, v21, v18
	v_fmamk_f16 v21, v24, 0xbbad, v41
	v_lshrrev_b32_e32 v62, 16, v24
	v_mul_f16_e32 v48, 0x3b47, v27
	v_mul_f16_e32 v58, 0xb853, v20
	v_lshrrev_b32_e32 v20, 16, v30
	v_pk_fma_f16 v36, 0x3482ba0c, v26, v19 op_sel:[0,0,1] op_sel_hi:[1,1,0] neg_lo:[0,1,0] neg_hi:[0,1,0]
	v_pk_fma_f16 v40, 0x3482ba0c, v26, v19 op_sel:[0,0,1] op_sel_hi:[1,1,0]
	v_add_f16_e32 v19, v32, v29
	v_add_f16_e32 v6, v31, v6
	v_pk_mul_f16 v31, 0xbbad36a6, v24
	v_add_f16_e32 v18, v21, v18
	v_fma_f16 v21, v62, 0x36a6, -v48
	v_mul_f16_e32 v61, 0xb853, v27
	v_pk_add_f16 v29, v13, v14
	v_mul_f16_e32 v44, 0x3beb, v20
	v_pk_fma_f16 v42, 0x3b473482, v27, v31 op_sel:[0,0,1] op_sel_hi:[1,1,0] neg_lo:[0,1,0] neg_hi:[0,1,0]
	v_fmamk_f16 v32, v24, 0x3abb, v58
	v_pk_fma_f16 v43, 0x3b473482, v27, v31 op_sel:[0,0,1] op_sel_hi:[1,1,0]
	v_add_f16_e32 v7, v21, v7
	v_fma_f16 v21, v62, 0x3abb, -v61
	v_fmamk_f16 v31, v29, 0xb08e, v44
	v_lshrrev_b32_e32 v66, 16, v29
	v_mul_f16_e32 v52, 0xb853, v30
	v_mul_f16_e32 v60, 0xb482, v20
	v_add_f16_e32 v19, v32, v19
	v_add_f16_e32 v6, v21, v6
	;; [unrolled: 1-line block ×3, first 2 shown]
	v_fma_f16 v20, v66, 0x3abb, -v52
	v_fmamk_f16 v21, v29, 0xbbad, v60
	v_pk_add_f16 v31, v15, v12 neg_lo:[0,1] neg_hi:[0,1]
	v_pk_mul_f16 v32, 0xb08e3abb, v29
	v_mul_f16_e32 v64, 0xb482, v30
	v_add_f16_e32 v20, v20, v7
	v_add_f16_e32 v69, v21, v19
	v_lshrrev_b32_e32 v7, 16, v31
	v_add_f16_e32 v19, v35, v33
	v_lshrrev_b32_e32 v21, 16, v34
	v_pk_fma_f16 v47, 0xb8533beb, v30, v32 op_sel:[0,0,1] op_sel_hi:[1,1,0] neg_lo:[0,1,0] neg_hi:[0,1,0]
	v_pk_fma_f16 v51, 0xb8533beb, v30, v32 op_sel:[0,0,1] op_sel_hi:[1,1,0]
	v_fma_f16 v55, v66, 0xbbad, -v64
	v_pk_add_f16 v32, v12, v15
	v_mul_f16_e32 v56, 0x3853, v7
	v_add_f16_e32 v19, v36, v19
	v_add_f16_e32 v21, v8, v21
	v_lshrrev_b32_e32 v57, 16, v40
	v_add_f16_e32 v70, v55, v6
	v_fmamk_f16 v6, v32, 0x3abb, v56
	v_pk_mul_f16 v63, 0x3abbb93d, v32
	v_add_f16_e32 v19, v42, v19
	v_add_f16_e32 v21, v57, v21
	v_lshrrev_b32_e32 v57, 16, v43
	v_add_f16_e32 v18, v6, v18
	v_pk_fma_f16 v55, 0xba0c3853, v31, v63 op_sel:[0,0,1] op_sel_hi:[1,1,0] neg_lo:[0,1,0] neg_hi:[0,1,0]
	v_add_f16_e32 v6, v47, v19
	v_lshrrev_b32_e32 v68, 16, v32
	v_add_f16_e32 v19, v57, v21
	v_lshrrev_b32_e32 v21, 16, v51
	v_pk_fma_f16 v57, 0xba0c3853, v31, v63 op_sel:[0,0,1] op_sel_hi:[1,1,0]
	v_mul_f16_e32 v63, 0xba0c, v31
	v_mul_f16_e32 v65, 0x3b47, v7
	;; [unrolled: 1-line block ×3, first 2 shown]
	v_add_f16_e32 v7, v21, v19
	v_lshrrev_b32_e32 v21, 16, v57
	v_fma_f16 v71, v68, 0xb93d, -v63
	v_fmamk_f16 v72, v32, 0x36a6, v65
	v_fma_f16 v73, v68, 0x36a6, -v67
	v_add_f16_e32 v19, v55, v6
	v_add_f16_e32 v7, v21, v7
	;; [unrolled: 1-line block ×5, first 2 shown]
	v_cmpx_gt_u32_e32 35, v5
	s_cbranch_execz .LBB0_15
; %bb.14:
	v_pk_add_f16 v9, v8, v9
	v_mul_f16_e32 v69, 0x36a6, v22
	v_mul_f16_e32 v71, 0xb08e, v49
	;; [unrolled: 1-line block ×4, first 2 shown]
	v_pk_add_f16 v9, v9, v16
	v_sub_f16_e32 v37, v69, v37
	v_mul_f16_e32 v74, 0xbbad, v59
	v_mul_f16_e32 v76, 0xbbad, v24
	v_add_f16_e32 v46, v46, v49
	v_pk_add_f16 v9, v9, v17
	v_add_f16_e32 v38, v38, v71
	v_add_f16_e32 v37, v8, v37
	v_sub_f16_e32 v17, v73, v39
	v_mul_f16_e32 v59, 0xb08e, v59
	v_pk_add_f16 v9, v9, v14
	v_mul_f16_e32 v77, 0x36a6, v62
	v_mul_f16_e32 v49, 0xb08e, v29
	v_add_f16_e32 v46, v35, v46
	v_add_f16_e32 v35, v35, v38
	;; [unrolled: 1-line block ×4, first 2 shown]
	v_sub_f16_e32 v17, v76, v41
	v_bfi_b32 v33, 0xffff, v34, v33
	v_pk_add_f16 v9, v9, v15
	v_mul_f16_e32 v72, 0xb93d, v22
	v_mul_f16_e32 v79, 0x3abb, v66
	v_add_f16_e32 v54, v54, v59
	v_mul_f16_e32 v59, 0x3abb, v32
	v_add_f16_e32 v35, v38, v35
	v_add_f16_e32 v38, v48, v77
	v_bfi_b32 v15, 0xffff, v40, v36
	v_add_f16_e32 v14, v17, v14
	v_sub_f16_e32 v17, v49, v44
	v_pk_add_f16 v9, v9, v12
	v_pk_add_f16 v12, v8, v33 op_sel:[1,0] op_sel_hi:[0,1]
	v_sub_f16_e32 v50, v72, v50
	v_mul_f16_e32 v72, 0xb93d, v68
	v_add_f16_e32 v16, v38, v35
	v_add_f16_e32 v35, v52, v79
	v_bfi_b32 v34, 0xffff, v43, v42
	v_add_f16_e32 v14, v17, v14
	v_sub_f16_e32 v17, v59, v56
	v_pk_add_f16 v9, v9, v13
	v_pk_add_f16 v12, v15, v12
	v_pk_mul_f16 v13, 0xbbad, v22 op_sel_hi:[0,1]
	v_add_f16_e32 v16, v35, v16
	v_add_f16_e32 v35, v63, v72
	v_bfi_b32 v33, 0xffff, v51, v47
	v_add_f16_e32 v14, v17, v14
	v_pk_add_f16 v9, v9, v10
	v_pk_add_f16 v10, v34, v12
	v_pk_fma_f16 v12, 0xb482, v25, v13 op_sel:[0,0,1] op_sel_hi:[0,1,0] neg_lo:[0,1,0] neg_hi:[0,1,0]
	v_pk_mul_f16 v17, 0x3abb, v23 op_sel_hi:[0,1]
	v_add_f16_e32 v16, v35, v16
	v_bfi_b32 v15, 0xffff, v57, v55
	v_pk_add_f16 v9, v9, v11
	v_pk_add_f16 v10, v33, v10
	v_alignbit_b32 v11, s0, v12, 16
	v_pk_fma_f16 v33, 0x3853, v26, v17 op_sel:[0,0,1] op_sel_hi:[0,1,0] neg_lo:[0,1,0] neg_hi:[0,1,0]
	v_pk_mul_f16 v35, 0xb93d, v24 op_sel_hi:[0,1]
	v_pk_add_f16 v9, v9, v28
	v_pk_add_f16 v10, v15, v10
	;; [unrolled: 1-line block ×3, first 2 shown]
	v_alignbit_b32 v15, s0, v33, 16
	v_pk_fma_f16 v28, 0xba0c, v27, v35 op_sel:[0,0,1] op_sel_hi:[0,1,0] neg_lo:[0,1,0] neg_hi:[0,1,0]
	v_pk_mul_f16 v36, 0x36a6, v29 op_sel_hi:[0,1]
	v_pk_fma_f16 v13, 0xb482, v25, v13 op_sel:[0,0,1] op_sel_hi:[0,1,0]
	v_alignbit_b32 v70, s0, v8, 16
	v_alignbit_b32 v16, v16, v10, 16
	v_pack_b32_f16 v10, v14, v10
	v_pk_add_f16 v11, v15, v11
	v_alignbit_b32 v14, s0, v28, 16
	v_pk_fma_f16 v15, 0x3b47, v30, v36 op_sel:[0,0,1] op_sel_hi:[0,1,0] neg_lo:[0,1,0] neg_hi:[0,1,0]
	v_pk_mul_f16 v37, 0xb08e, v32 op_sel_hi:[0,1]
	v_pk_add_f16 v13, v8, v13 op_sel:[1,0] op_sel_hi:[0,1]
	v_pk_fma_f16 v17, 0x3853, v26, v17 op_sel:[0,0,1] op_sel_hi:[0,1,0]
	v_pk_add_f16 v11, v14, v11
	v_alignbit_b32 v14, s0, v15, 16
	v_pk_fma_f16 v39, 0xbbeb, v31, v37 op_sel:[0,0,1] op_sel_hi:[0,1,0] neg_lo:[0,1,0] neg_hi:[0,1,0]
	v_pk_add_f16 v12, v70, v12
	v_pk_add_f16 v13, v17, v13
	v_pk_fma_f16 v17, 0xba0c, v27, v35 op_sel:[0,0,1] op_sel_hi:[0,1,0]
	v_pk_add_f16 v11, v14, v11
	v_alignbit_b32 v14, s0, v39, 16
	v_pk_add_f16 v12, v33, v12
	v_pk_mul_f16 v25, 0xb853, v25 op_sel_hi:[0,1]
	v_pk_add_f16 v13, v17, v13
	v_pk_fma_f16 v17, 0x3b47, v30, v36 op_sel:[0,0,1] op_sel_hi:[0,1,0]
	v_mul_f16_e32 v75, 0xb08e, v23
	v_mul_f16_e32 v62, 0x3abb, v62
	v_pk_add_f16 v11, v14, v11
	v_pk_add_f16 v12, v28, v12
	v_pk_fma_f16 v14, 0x3abb, v22, v25 op_sel:[0,0,1] op_sel_hi:[0,1,0]
	v_pk_mul_f16 v26, 0xbb47, v26 op_sel_hi:[0,1]
	v_pk_add_f16 v13, v17, v13
	v_pk_fma_f16 v17, 0xbbeb, v31, v37 op_sel:[0,0,1] op_sel_hi:[0,1,0]
	v_pk_fma_f16 v22, 0x3abb, v22, v25 op_sel:[0,0,1] op_sel_hi:[0,1,0] neg_lo:[0,0,1] neg_hi:[0,0,1]
	v_mul_f16_e32 v78, 0x3abb, v24
	v_mul_f16_e32 v66, 0xbbad, v66
	v_add_f16_e32 v46, v54, v46
	v_add_f16_e32 v54, v61, v62
	;; [unrolled: 1-line block ×3, first 2 shown]
	v_sub_f16_e32 v53, v75, v53
	v_pk_add_f16 v12, v15, v12
	v_pk_add_f16 v15, v8, v14
	v_pk_fma_f16 v28, 0x36a6, v23, v26 op_sel:[0,0,1] op_sel_hi:[0,1,0]
	v_pk_mul_f16 v27, 0xbbeb, v27 op_sel_hi:[0,1]
	v_pk_add_f16 v13, v17, v13
	v_bfi_b32 v14, 0xffff, v14, v22
	v_pk_fma_f16 v17, 0x36a6, v23, v26 op_sel:[0,0,1] op_sel_hi:[0,1,0] neg_lo:[0,0,1] neg_hi:[0,0,1]
	v_pk_add_f16 v22, v8, v22
	v_mul_f16_e32 v80, 0xbbad, v29
	v_mul_f16_e32 v61, 0x36a6, v68
	v_add_f16_e32 v46, v54, v46
	v_add_f16_e32 v54, v64, v66
	;; [unrolled: 1-line block ×3, first 2 shown]
	v_sub_f16_e32 v53, v78, v58
	v_pk_add_f16 v15, v28, v15
	v_pk_fma_f16 v25, 0xb08e, v24, v27 op_sel:[0,0,1] op_sel_hi:[0,1,0]
	v_pk_mul_f16 v23, 0xba0c, v30 op_sel_hi:[0,1]
	v_pk_add_f16 v8, v8, v14
	v_bfi_b32 v14, 0xffff, v28, v17
	v_pk_fma_f16 v24, 0xb08e, v24, v27 op_sel:[0,0,1] op_sel_hi:[0,1,0] neg_lo:[0,0,1] neg_hi:[0,0,1]
	v_pk_add_f16 v17, v17, v22
	v_mul_f16_e32 v81, 0x36a6, v32
	v_add_f16_e32 v45, v54, v46
	v_add_f16_e32 v46, v67, v61
	;; [unrolled: 1-line block ×3, first 2 shown]
	v_sub_f16_e32 v53, v80, v60
	v_pk_add_f16 v15, v25, v15
	v_pk_fma_f16 v26, 0xb93d, v29, v23 op_sel:[0,0,1] op_sel_hi:[0,1,0]
	v_pk_mul_f16 v27, 0xb482, v31 op_sel_hi:[0,1]
	v_pk_add_f16 v8, v14, v8
	v_bfi_b32 v14, 0xffff, v25, v24
	v_pk_fma_f16 v22, 0xb93d, v29, v23 op_sel:[0,0,1] op_sel_hi:[0,1,0] neg_lo:[0,0,1] neg_hi:[0,0,1]
	v_pk_add_f16 v17, v24, v17
	v_add_f16_e32 v45, v46, v45
	v_add_f16_e32 v46, v53, v50
	v_sub_f16_e32 v38, v81, v65
	v_pk_add_f16 v15, v26, v15
	v_pk_fma_f16 v23, 0xbbad, v32, v27 op_sel:[0,0,1] op_sel_hi:[0,1,0]
	v_pk_add_f16 v8, v14, v8
	v_bfi_b32 v14, 0xffff, v26, v22
	v_pk_fma_f16 v24, 0xbbad, v32, v27 op_sel:[0,0,1] op_sel_hi:[0,1,0] neg_lo:[0,0,1] neg_hi:[0,0,1]
	v_pk_add_f16 v17, v22, v17
	v_add_f16_e32 v38, v38, v46
	v_pk_add_f16 v12, v39, v12
	v_pk_add_f16 v15, v23, v15
	v_pk_add_f16 v8, v14, v8
	v_bfi_b32 v14, 0xffff, v23, v24
	v_pk_add_f16 v17, v24, v17
	v_mad_u32_u24 v34, v5, 40, v0
	v_pack_b32_f16 v38, v38, v45
	v_alignbit_b32 v12, v12, v13, 16
	v_pack_b32_f16 v11, v11, v13
	v_pk_add_f16 v8, v14, v8
	v_bfi_b32 v14, 0xffff, v17, v15
	v_perm_b32 v13, v21, v7, 0x5040100
	v_perm_b32 v22, v20, v6, 0x5040100
	;; [unrolled: 1-line block ×3, first 2 shown]
	ds_store_b32 v34, v38 offset:16
	ds_store_2addr_b32 v34, v11, v12 offset0:5 offset1:6
	ds_store_2addr_b32 v34, v10, v16 offset0:2 offset1:3
	ds_store_2addr_b32 v34, v9, v14 offset1:1
	ds_store_2addr_b32 v34, v22, v13 offset0:7 offset1:8
	ds_store_2addr_b32 v34, v15, v8 offset0:9 offset1:10
.LBB0_15:
	s_wait_alu 0xfffe
	s_or_b32 exec_lo, exec_lo, s1
	v_and_b32_e32 v8, 0xff, v5
	s_load_b64 s[2:3], s[2:3], 0x0
	global_wb scope:SCOPE_SE
	s_wait_dscnt 0x0
	s_wait_kmcnt 0x0
	s_barrier_signal -1
	s_barrier_wait -1
	v_mul_lo_u16 v8, 0x75, v8
	global_inv scope:SCOPE_SE
	v_cmp_gt_u32_e64 s0, 22, v5
	v_lshrrev_b16 v8, 8, v8
	s_delay_alu instid0(VALU_DEP_1) | instskip(NEXT) | instid1(VALU_DEP_1)
	v_sub_nc_u16 v9, v5, v8
	v_lshrrev_b16 v9, 1, v9
	s_delay_alu instid0(VALU_DEP_1) | instskip(NEXT) | instid1(VALU_DEP_1)
	v_and_b32_e32 v9, 0x7f, v9
	v_add_nc_u16 v8, v9, v8
	s_delay_alu instid0(VALU_DEP_1) | instskip(NEXT) | instid1(VALU_DEP_1)
	v_lshrrev_b16 v17, 3, v8
	v_mul_lo_u16 v8, v17, 11
	v_and_b32_e32 v17, 0xffff, v17
	s_delay_alu instid0(VALU_DEP_2) | instskip(NEXT) | instid1(VALU_DEP_2)
	v_sub_nc_u16 v8, v5, v8
	v_mul_u32_u24_e32 v17, 0x134, v17
	s_delay_alu instid0(VALU_DEP_2) | instskip(NEXT) | instid1(VALU_DEP_1)
	v_and_b32_e32 v26, 0xff, v8
	v_mul_u32_u24_e32 v8, 6, v26
	v_lshlrev_b32_e32 v26, 2, v26
	s_delay_alu instid0(VALU_DEP_2) | instskip(NEXT) | instid1(VALU_DEP_2)
	v_lshlrev_b32_e32 v12, 2, v8
	v_add3_u32 v26, 0, v17, v26
	s_clause 0x1
	global_load_b128 v[8:11], v12, s[8:9]
	global_load_b64 v[13:14], v12, s[8:9] offset:16
	v_add_nc_u32_e32 v12, 0x200, v0
	ds_load_2addr_b32 v[15:16], v0 offset1:55
	ds_load_2addr_b32 v[22:23], v0 offset0:110 offset1:165
	ds_load_b32 v27, v0 offset:1320
	ds_load_2addr_b32 v[24:25], v12 offset0:92 offset1:147
	global_wb scope:SCOPE_SE
	s_wait_loadcnt_dscnt 0x0
	s_barrier_signal -1
	s_barrier_wait -1
	global_inv scope:SCOPE_SE
	v_lshrrev_b32_e32 v28, 16, v16
	v_lshrrev_b32_e32 v29, 16, v22
	;; [unrolled: 1-line block ×13, first 2 shown]
	v_mul_f16_e32 v40, v17, v28
	v_mul_f16_e32 v17, v17, v16
	;; [unrolled: 1-line block ×12, first 2 shown]
	v_fma_f16 v16, v8, v16, -v40
	v_fmac_f16_e32 v17, v8, v28
	v_fma_f16 v8, v9, v22, -v41
	v_fmac_f16_e32 v35, v9, v29
	;; [unrolled: 2-line block ×3, first 2 shown]
	v_fma_f16 v10, v11, v24, -v43
	v_fma_f16 v22, v14, v27, -v45
	v_fmac_f16_e32 v39, v14, v31
	v_fmac_f16_e32 v37, v11, v33
	v_fma_f16 v11, v13, v25, -v44
	v_fmac_f16_e32 v38, v13, v34
	v_add_f16_e32 v13, v16, v22
	v_add_f16_e32 v14, v17, v39
	v_sub_f16_e32 v16, v16, v22
	v_add_f16_e32 v22, v8, v11
	v_add_f16_e32 v23, v35, v38
	v_sub_f16_e32 v17, v17, v39
	v_sub_f16_e32 v8, v8, v11
	;; [unrolled: 1-line block ×3, first 2 shown]
	v_add_f16_e32 v24, v9, v10
	v_add_f16_e32 v25, v36, v37
	v_sub_f16_e32 v9, v10, v9
	v_sub_f16_e32 v10, v37, v36
	v_add_f16_e32 v27, v22, v13
	v_add_f16_e32 v28, v23, v14
	v_sub_f16_e32 v29, v22, v13
	v_sub_f16_e32 v30, v23, v14
	;; [unrolled: 1-line block ×6, first 2 shown]
	v_add_f16_e32 v31, v9, v8
	v_add_f16_e32 v33, v10, v11
	v_sub_f16_e32 v34, v9, v8
	v_sub_f16_e32 v35, v10, v11
	;; [unrolled: 1-line block ×3, first 2 shown]
	v_add_f16_e32 v24, v24, v27
	v_add_f16_e32 v25, v25, v28
	v_sub_f16_e32 v8, v8, v16
	v_sub_f16_e32 v9, v16, v9
	;; [unrolled: 1-line block ×3, first 2 shown]
	v_add_f16_e32 v16, v31, v16
	v_add_f16_e32 v17, v33, v17
	v_mul_f16_e32 v13, 0x3a52, v13
	v_mul_f16_e32 v14, 0x3a52, v14
	;; [unrolled: 1-line block ×7, first 2 shown]
	v_add_f16_e32 v15, v24, v15
	v_add_f16_e32 v32, v25, v32
	v_mul_f16_e32 v34, 0x3b00, v8
	v_fmamk_f16 v22, v22, 0x2b26, v13
	v_fmamk_f16 v23, v23, 0x2b26, v14
	v_fma_f16 v27, v29, 0x39e0, -v27
	v_fma_f16 v28, v30, 0x39e0, -v28
	;; [unrolled: 1-line block ×4, first 2 shown]
	v_fmamk_f16 v29, v9, 0x3574, v31
	v_fmamk_f16 v30, v10, 0x3574, v33
	v_fma_f16 v11, v11, 0x3b00, -v33
	v_fma_f16 v10, v10, 0xb574, -v35
	v_fmamk_f16 v24, v24, 0xbcab, v15
	v_fmamk_f16 v25, v25, 0xbcab, v32
	v_fma_f16 v8, v8, 0x3b00, -v31
	v_fma_f16 v9, v9, 0xb574, -v34
	v_fmac_f16_e32 v29, 0x370e, v16
	v_fmac_f16_e32 v30, 0x370e, v17
	;; [unrolled: 1-line block ×4, first 2 shown]
	v_add_f16_e32 v17, v22, v24
	v_add_f16_e32 v22, v23, v25
	v_fmac_f16_e32 v8, 0x370e, v16
	v_fmac_f16_e32 v9, 0x370e, v16
	v_add_f16_e32 v16, v27, v24
	v_add_f16_e32 v13, v13, v24
	;; [unrolled: 1-line block ×5, first 2 shown]
	v_sub_f16_e32 v25, v22, v29
	v_pack_b32_f16 v15, v15, v32
	v_add_f16_e32 v27, v10, v13
	v_sub_f16_e32 v28, v14, v9
	v_sub_f16_e32 v31, v16, v11
	v_add_f16_e32 v32, v8, v23
	v_add_f16_e32 v11, v11, v16
	v_sub_f16_e32 v23, v23, v8
	v_sub_f16_e32 v8, v13, v10
	v_add_f16_e32 v16, v9, v14
	v_sub_f16_e32 v9, v17, v30
	v_add_f16_e32 v17, v29, v22
	v_pack_b32_f16 v10, v24, v25
	v_pack_b32_f16 v13, v27, v28
	;; [unrolled: 1-line block ×6, first 2 shown]
	ds_store_2addr_b32 v26, v15, v10 offset1:11
	ds_store_2addr_b32 v26, v13, v14 offset0:22 offset1:33
	ds_store_2addr_b32 v26, v11, v22 offset0:44 offset1:55
	ds_store_b32 v26, v23 offset:264
	global_wb scope:SCOPE_SE
	s_wait_dscnt 0x0
	s_barrier_signal -1
	s_barrier_wait -1
	global_inv scope:SCOPE_SE
	ds_load_2addr_b32 v[10:11], v0 offset1:77
	ds_load_2addr_b32 v[14:15], v0 offset0:154 offset1:231
	ds_load_b32 v22, v0 offset:1232
	s_and_saveexec_b32 s1, s0
	s_cbranch_execz .LBB0_17
; %bb.16:
	ds_load_2addr_b32 v[8:9], v0 offset0:55 offset1:132
	ds_load_b32 v18, v0 offset:1452
	ds_load_2addr_b32 v[6:7], v12 offset0:81 offset1:158
	s_wait_dscnt 0x2
	v_lshrrev_b32_e32 v16, 16, v8
	s_wait_dscnt 0x1
	v_lshrrev_b32_e32 v19, 16, v18
	v_lshrrev_b32_e32 v17, 16, v9
	s_wait_dscnt 0x0
	v_lshrrev_b32_e32 v20, 16, v6
	v_lshrrev_b32_e32 v21, 16, v7
.LBB0_17:
	s_wait_alu 0xfffe
	s_or_b32 exec_lo, exec_lo, s1
	v_dual_mov_b32 v13, 0 :: v_dual_lshlrev_b32 v12, 2, v5
	s_wait_dscnt 0x0
	v_lshrrev_b32_e32 v27, 16, v22
	v_lshrrev_b32_e32 v28, 16, v15
	;; [unrolled: 1-line block ×4, first 2 shown]
	v_lshlrev_b64_e32 v[23:24], 2, v[12:13]
	v_lshrrev_b32_e32 v12, 16, v10
	s_delay_alu instid0(VALU_DEP_2) | instskip(SKIP_1) | instid1(VALU_DEP_3)
	v_add_co_u32 v23, s1, s8, v23
	s_wait_alu 0xf1ff
	v_add_co_ci_u32_e64 v24, s1, s9, v24, s1
	global_load_b128 v[23:26], v[23:24], off offset:264
	global_wb scope:SCOPE_SE
	s_wait_loadcnt 0x0
	s_barrier_signal -1
	s_barrier_wait -1
	global_inv scope:SCOPE_SE
	v_lshrrev_b32_e32 v31, 16, v23
	v_lshrrev_b32_e32 v32, 16, v24
	v_lshrrev_b32_e32 v33, 16, v25
	v_lshrrev_b32_e32 v34, 16, v26
	s_delay_alu instid0(VALU_DEP_4)
	v_mul_f16_e32 v35, v31, v30
	v_mul_f16_e32 v31, v31, v11
	;; [unrolled: 1-line block ×8, first 2 shown]
	v_fma_f16 v11, v23, v11, -v35
	v_fmac_f16_e32 v31, v23, v30
	v_fma_f16 v14, v24, v14, -v36
	v_fmac_f16_e32 v32, v24, v29
	;; [unrolled: 2-line block ×4, first 2 shown]
	v_add_f16_e32 v23, v10, v11
	v_add_f16_e32 v24, v14, v15
	v_sub_f16_e32 v27, v11, v14
	v_sub_f16_e32 v28, v22, v15
	v_add_f16_e32 v29, v11, v22
	v_add_f16_e32 v36, v12, v31
	;; [unrolled: 1-line block ×4, first 2 shown]
	v_sub_f16_e32 v25, v31, v34
	v_sub_f16_e32 v30, v14, v11
	;; [unrolled: 1-line block ×4, first 2 shown]
	v_add_f16_e32 v14, v23, v14
	v_fma_f16 v23, -0.5, v24, v10
	v_add_f16_e32 v24, v27, v28
	v_fmac_f16_e32 v10, -0.5, v29
	v_add_f16_e32 v28, v36, v32
	v_fma_f16 v29, -0.5, v37, v12
	v_sub_f16_e32 v26, v32, v33
	v_sub_f16_e32 v35, v15, v22
	v_fmac_f16_e32 v12, -0.5, v41
	v_sub_f16_e32 v39, v31, v32
	v_sub_f16_e32 v40, v34, v33
	;; [unrolled: 1-line block ×3, first 2 shown]
	v_add_f16_e32 v14, v14, v15
	v_fmamk_f16 v15, v25, 0x3b9c, v23
	v_add_f16_e32 v28, v28, v33
	v_fmamk_f16 v33, v11, 0xbb9c, v29
	v_sub_f16_e32 v31, v32, v31
	v_add_f16_e32 v27, v30, v35
	v_fmamk_f16 v32, v26, 0xbb9c, v10
	v_fmac_f16_e32 v10, 0x3b9c, v26
	v_fmamk_f16 v35, v38, 0x3b9c, v12
	v_fmac_f16_e32 v12, 0xbb9c, v38
	v_fmac_f16_e32 v23, 0xbb9c, v25
	;; [unrolled: 1-line block ×3, first 2 shown]
	v_add_f16_e32 v30, v39, v40
	v_fmac_f16_e32 v15, 0x38b4, v26
	v_fmac_f16_e32 v33, 0xb8b4, v38
	v_add_f16_e32 v31, v31, v42
	v_fmac_f16_e32 v32, 0x38b4, v25
	v_fmac_f16_e32 v10, 0xb8b4, v25
	;; [unrolled: 1-line block ×6, first 2 shown]
	v_add_f16_e32 v14, v14, v22
	v_add_f16_e32 v22, v28, v34
	v_fmac_f16_e32 v15, 0x34f2, v24
	v_fmac_f16_e32 v33, 0x34f2, v30
	;; [unrolled: 1-line block ×8, first 2 shown]
	v_pack_b32_f16 v11, v14, v22
	v_pack_b32_f16 v14, v15, v33
	;; [unrolled: 1-line block ×5, first 2 shown]
	ds_store_2addr_b32 v0, v11, v14 offset1:77
	ds_store_2addr_b32 v0, v15, v10 offset0:154 offset1:231
	ds_store_b32 v0, v12 offset:1232
	s_and_saveexec_b32 s1, s0
	s_cbranch_execz .LBB0_19
; %bb.18:
	v_cndmask_b32_e64 v10, 0xffffffea, 55, s0
	v_add_nc_u32_e32 v24, 0x200, v0
	s_delay_alu instid0(VALU_DEP_2) | instskip(NEXT) | instid1(VALU_DEP_1)
	v_add_lshl_u32 v12, v5, v10, 2
	v_lshlrev_b64_e32 v[10:11], 2, v[12:13]
	s_delay_alu instid0(VALU_DEP_1) | instskip(SKIP_1) | instid1(VALU_DEP_2)
	v_add_co_u32 v10, s0, s8, v10
	s_wait_alu 0xf1ff
	v_add_co_ci_u32_e64 v11, s0, s9, v11, s0
	global_load_b128 v[10:13], v[10:11], off offset:264
	s_wait_loadcnt 0x0
	v_lshrrev_b32_e32 v14, 16, v13
	v_lshrrev_b32_e32 v15, 16, v12
	;; [unrolled: 1-line block ×4, first 2 shown]
	s_delay_alu instid0(VALU_DEP_4) | instskip(NEXT) | instid1(VALU_DEP_4)
	v_mul_f16_e32 v25, v18, v14
	v_mul_f16_e32 v26, v7, v15
	s_delay_alu instid0(VALU_DEP_4) | instskip(NEXT) | instid1(VALU_DEP_4)
	v_mul_f16_e32 v27, v6, v22
	v_mul_f16_e32 v28, v9, v23
	;; [unrolled: 1-line block ×6, first 2 shown]
	v_fmac_f16_e32 v25, v19, v13
	v_fmac_f16_e32 v26, v21, v12
	;; [unrolled: 1-line block ×4, first 2 shown]
	v_fma_f16 v9, v9, v10, -v23
	v_fma_f16 v6, v6, v11, -v22
	;; [unrolled: 1-line block ×4, first 2 shown]
	v_sub_f16_e32 v13, v27, v28
	v_add_f16_e32 v12, v8, v9
	v_sub_f16_e32 v14, v26, v25
	v_add_f16_e32 v17, v28, v25
	v_sub_f16_e32 v19, v28, v27
	v_sub_f16_e32 v20, v25, v26
	v_add_f16_e32 v21, v27, v26
	v_add_f16_e32 v29, v9, v10
	;; [unrolled: 1-line block ×4, first 2 shown]
	v_sub_f16_e32 v15, v9, v10
	v_sub_f16_e32 v18, v6, v7
	;; [unrolled: 1-line block ×6, first 2 shown]
	v_add_f16_e32 v6, v12, v6
	v_add_f16_e32 v12, v13, v14
	v_fma_f16 v13, -0.5, v17, v16
	v_add_f16_e32 v14, v19, v20
	v_fmac_f16_e32 v16, -0.5, v21
	v_fma_f16 v19, -0.5, v29, v8
	v_fmac_f16_e32 v8, -0.5, v32
	v_sub_f16_e32 v30, v27, v26
	v_sub_f16_e32 v31, v10, v7
	v_add_f16_e32 v11, v11, v27
	v_add_f16_e32 v17, v22, v23
	v_fmamk_f16 v20, v15, 0x3b9c, v16
	v_fmac_f16_e32 v16, 0xbb9c, v15
	v_fmamk_f16 v22, v28, 0xbb9c, v8
	v_fmac_f16_e32 v8, 0x3b9c, v28
	v_add_f16_e32 v6, v6, v7
	v_fmamk_f16 v7, v18, 0xbb9c, v13
	v_fmac_f16_e32 v13, 0x3b9c, v18
	v_fmamk_f16 v21, v30, 0x3b9c, v19
	v_fmac_f16_e32 v19, 0xbb9c, v30
	v_add_f16_e32 v9, v9, v31
	v_add_f16_e32 v11, v11, v26
	v_fmac_f16_e32 v16, 0xb8b4, v18
	v_fmac_f16_e32 v8, 0x38b4, v30
	;; [unrolled: 1-line block ×8, first 2 shown]
	v_add_f16_e32 v11, v11, v25
	v_add_f16_e32 v6, v6, v10
	v_fmac_f16_e32 v16, 0x34f2, v14
	v_fmac_f16_e32 v8, 0x34f2, v9
	;; [unrolled: 1-line block ×8, first 2 shown]
	v_pack_b32_f16 v6, v6, v11
	v_pack_b32_f16 v8, v8, v16
	;; [unrolled: 1-line block ×5, first 2 shown]
	ds_store_2addr_b32 v0, v6, v8 offset0:55 offset1:132
	ds_store_2addr_b32 v24, v9, v7 offset0:81 offset1:158
	ds_store_b32 v0, v10 offset:1452
.LBB0_19:
	s_wait_alu 0xfffe
	s_or_b32 exec_lo, exec_lo, s1
	global_wb scope:SCOPE_SE
	s_wait_dscnt 0x0
	s_barrier_signal -1
	s_barrier_wait -1
	global_inv scope:SCOPE_SE
	s_and_saveexec_b32 s0, vcc_lo
	s_cbranch_execz .LBB0_21
; %bb.20:
	v_mul_lo_u32 v0, s3, v3
	v_mul_lo_u32 v7, s2, v4
	v_mad_co_u64_u32 v[3:4], null, s2, v3, 0
	v_mov_b32_e32 v6, 0
	v_lshl_add_u32 v21, v5, 2, 0
	v_add_nc_u32_e32 v17, 0x113, v5
	v_add_nc_u32_e32 v15, 0xdc, v5
	v_add3_u32 v4, v4, v7, v0
	v_add_nc_u32_e32 v7, 0x6e, v5
	v_lshlrev_b64_e32 v[0:1], 2, v[1:2]
	v_lshlrev_b64_e32 v[13:14], 2, v[5:6]
	v_mov_b32_e32 v8, v6
	v_lshlrev_b64_e32 v[9:10], 2, v[3:4]
	v_dual_mov_b32 v3, v6 :: v_dual_add_nc_u32 v2, 55, v5
	ds_load_2addr_b32 v[11:12], v21 offset1:55
	v_mov_b32_e32 v16, v6
	v_mov_b32_e32 v18, v6
	v_add_co_u32 v4, vcc_lo, s6, v9
	s_wait_alu 0xfffd
	v_add_co_ci_u32_e32 v9, vcc_lo, s7, v10, vcc_lo
	v_lshlrev_b64_e32 v[2:3], 2, v[2:3]
	s_delay_alu instid0(VALU_DEP_3) | instskip(SKIP_1) | instid1(VALU_DEP_3)
	v_add_co_u32 v22, vcc_lo, v4, v0
	s_wait_alu 0xfffd
	v_add_co_ci_u32_e32 v23, vcc_lo, v9, v1, vcc_lo
	v_lshlrev_b64_e32 v[0:1], 2, v[7:8]
	s_delay_alu instid0(VALU_DEP_3) | instskip(SKIP_1) | instid1(VALU_DEP_3)
	v_add_co_u32 v7, vcc_lo, v22, v13
	s_wait_alu 0xfffd
	v_add_co_ci_u32_e32 v8, vcc_lo, v23, v14, vcc_lo
	v_add_nc_u32_e32 v13, 0xa5, v5
	v_dual_mov_b32 v14, v6 :: v_dual_add_nc_u32 v5, 0x14a, v5
	v_add_nc_u32_e32 v4, 0x200, v21
	ds_load_2addr_b32 v[9:10], v21 offset0:110 offset1:165
	v_add_co_u32 v2, vcc_lo, v22, v2
	v_lshlrev_b64_e32 v[13:14], 2, v[13:14]
	ds_load_2addr_b32 v[19:20], v4 offset0:92 offset1:147
	s_wait_alu 0xfffd
	v_add_co_ci_u32_e32 v3, vcc_lo, v23, v3, vcc_lo
	v_add_co_u32 v0, vcc_lo, v22, v0
	v_lshlrev_b64_e32 v[15:16], 2, v[15:16]
	ds_load_b32 v21, v21 offset:1320
	s_wait_alu 0xfffd
	v_add_co_ci_u32_e32 v1, vcc_lo, v23, v1, vcc_lo
	v_add_co_u32 v13, vcc_lo, v22, v13
	v_lshlrev_b64_e32 v[17:18], 2, v[17:18]
	s_wait_alu 0xfffd
	v_add_co_ci_u32_e32 v14, vcc_lo, v23, v14, vcc_lo
	v_add_co_u32 v15, vcc_lo, v22, v15
	v_lshlrev_b64_e32 v[4:5], 2, v[5:6]
	s_wait_alu 0xfffd
	v_add_co_ci_u32_e32 v16, vcc_lo, v23, v16, vcc_lo
	v_add_co_u32 v17, vcc_lo, v22, v17
	s_wait_alu 0xfffd
	v_add_co_ci_u32_e32 v18, vcc_lo, v23, v18, vcc_lo
	v_add_co_u32 v4, vcc_lo, v22, v4
	s_wait_alu 0xfffd
	v_add_co_ci_u32_e32 v5, vcc_lo, v23, v5, vcc_lo
	s_wait_dscnt 0x3
	s_clause 0x1
	global_store_b32 v[7:8], v11, off
	global_store_b32 v[2:3], v12, off
	s_wait_dscnt 0x2
	s_clause 0x1
	global_store_b32 v[0:1], v9, off
	global_store_b32 v[13:14], v10, off
	;; [unrolled: 4-line block ×3, first 2 shown]
	s_wait_dscnt 0x0
	global_store_b32 v[4:5], v21, off
.LBB0_21:
	s_nop 0
	s_sendmsg sendmsg(MSG_DEALLOC_VGPRS)
	s_endpgm
	.section	.rodata,"a",@progbits
	.p2align	6, 0x0
	.amdhsa_kernel fft_rtc_fwd_len385_factors_11_7_5_wgs_55_tpt_55_half_op_CI_CI_unitstride_sbrr_dirReg
		.amdhsa_group_segment_fixed_size 0
		.amdhsa_private_segment_fixed_size 0
		.amdhsa_kernarg_size 104
		.amdhsa_user_sgpr_count 2
		.amdhsa_user_sgpr_dispatch_ptr 0
		.amdhsa_user_sgpr_queue_ptr 0
		.amdhsa_user_sgpr_kernarg_segment_ptr 1
		.amdhsa_user_sgpr_dispatch_id 0
		.amdhsa_user_sgpr_private_segment_size 0
		.amdhsa_wavefront_size32 1
		.amdhsa_uses_dynamic_stack 0
		.amdhsa_enable_private_segment 0
		.amdhsa_system_sgpr_workgroup_id_x 1
		.amdhsa_system_sgpr_workgroup_id_y 0
		.amdhsa_system_sgpr_workgroup_id_z 0
		.amdhsa_system_sgpr_workgroup_info 0
		.amdhsa_system_vgpr_workitem_id 0
		.amdhsa_next_free_vgpr 82
		.amdhsa_next_free_sgpr 39
		.amdhsa_reserve_vcc 1
		.amdhsa_float_round_mode_32 0
		.amdhsa_float_round_mode_16_64 0
		.amdhsa_float_denorm_mode_32 3
		.amdhsa_float_denorm_mode_16_64 3
		.amdhsa_fp16_overflow 0
		.amdhsa_workgroup_processor_mode 1
		.amdhsa_memory_ordered 1
		.amdhsa_forward_progress 0
		.amdhsa_round_robin_scheduling 0
		.amdhsa_exception_fp_ieee_invalid_op 0
		.amdhsa_exception_fp_denorm_src 0
		.amdhsa_exception_fp_ieee_div_zero 0
		.amdhsa_exception_fp_ieee_overflow 0
		.amdhsa_exception_fp_ieee_underflow 0
		.amdhsa_exception_fp_ieee_inexact 0
		.amdhsa_exception_int_div_zero 0
	.end_amdhsa_kernel
	.text
.Lfunc_end0:
	.size	fft_rtc_fwd_len385_factors_11_7_5_wgs_55_tpt_55_half_op_CI_CI_unitstride_sbrr_dirReg, .Lfunc_end0-fft_rtc_fwd_len385_factors_11_7_5_wgs_55_tpt_55_half_op_CI_CI_unitstride_sbrr_dirReg
                                        ; -- End function
	.section	.AMDGPU.csdata,"",@progbits
; Kernel info:
; codeLenInByte = 6804
; NumSgprs: 41
; NumVgprs: 82
; ScratchSize: 0
; MemoryBound: 0
; FloatMode: 240
; IeeeMode: 1
; LDSByteSize: 0 bytes/workgroup (compile time only)
; SGPRBlocks: 5
; VGPRBlocks: 10
; NumSGPRsForWavesPerEU: 41
; NumVGPRsForWavesPerEU: 82
; Occupancy: 16
; WaveLimiterHint : 1
; COMPUTE_PGM_RSRC2:SCRATCH_EN: 0
; COMPUTE_PGM_RSRC2:USER_SGPR: 2
; COMPUTE_PGM_RSRC2:TRAP_HANDLER: 0
; COMPUTE_PGM_RSRC2:TGID_X_EN: 1
; COMPUTE_PGM_RSRC2:TGID_Y_EN: 0
; COMPUTE_PGM_RSRC2:TGID_Z_EN: 0
; COMPUTE_PGM_RSRC2:TIDIG_COMP_CNT: 0
	.text
	.p2alignl 7, 3214868480
	.fill 96, 4, 3214868480
	.type	__hip_cuid_8ecf2254bcb5781a,@object ; @__hip_cuid_8ecf2254bcb5781a
	.section	.bss,"aw",@nobits
	.globl	__hip_cuid_8ecf2254bcb5781a
__hip_cuid_8ecf2254bcb5781a:
	.byte	0                               ; 0x0
	.size	__hip_cuid_8ecf2254bcb5781a, 1

	.ident	"AMD clang version 19.0.0git (https://github.com/RadeonOpenCompute/llvm-project roc-6.4.0 25133 c7fe45cf4b819c5991fe208aaa96edf142730f1d)"
	.section	".note.GNU-stack","",@progbits
	.addrsig
	.addrsig_sym __hip_cuid_8ecf2254bcb5781a
	.amdgpu_metadata
---
amdhsa.kernels:
  - .args:
      - .actual_access:  read_only
        .address_space:  global
        .offset:         0
        .size:           8
        .value_kind:     global_buffer
      - .offset:         8
        .size:           8
        .value_kind:     by_value
      - .actual_access:  read_only
        .address_space:  global
        .offset:         16
        .size:           8
        .value_kind:     global_buffer
      - .actual_access:  read_only
        .address_space:  global
        .offset:         24
        .size:           8
        .value_kind:     global_buffer
      - .actual_access:  read_only
        .address_space:  global
        .offset:         32
        .size:           8
        .value_kind:     global_buffer
      - .offset:         40
        .size:           8
        .value_kind:     by_value
      - .actual_access:  read_only
        .address_space:  global
        .offset:         48
        .size:           8
        .value_kind:     global_buffer
      - .actual_access:  read_only
        .address_space:  global
        .offset:         56
        .size:           8
        .value_kind:     global_buffer
      - .offset:         64
        .size:           4
        .value_kind:     by_value
      - .actual_access:  read_only
        .address_space:  global
        .offset:         72
        .size:           8
        .value_kind:     global_buffer
      - .actual_access:  read_only
        .address_space:  global
        .offset:         80
        .size:           8
        .value_kind:     global_buffer
      - .actual_access:  read_only
        .address_space:  global
        .offset:         88
        .size:           8
        .value_kind:     global_buffer
      - .actual_access:  write_only
        .address_space:  global
        .offset:         96
        .size:           8
        .value_kind:     global_buffer
    .group_segment_fixed_size: 0
    .kernarg_segment_align: 8
    .kernarg_segment_size: 104
    .language:       OpenCL C
    .language_version:
      - 2
      - 0
    .max_flat_workgroup_size: 55
    .name:           fft_rtc_fwd_len385_factors_11_7_5_wgs_55_tpt_55_half_op_CI_CI_unitstride_sbrr_dirReg
    .private_segment_fixed_size: 0
    .sgpr_count:     41
    .sgpr_spill_count: 0
    .symbol:         fft_rtc_fwd_len385_factors_11_7_5_wgs_55_tpt_55_half_op_CI_CI_unitstride_sbrr_dirReg.kd
    .uniform_work_group_size: 1
    .uses_dynamic_stack: false
    .vgpr_count:     82
    .vgpr_spill_count: 0
    .wavefront_size: 32
    .workgroup_processor_mode: 1
amdhsa.target:   amdgcn-amd-amdhsa--gfx1201
amdhsa.version:
  - 1
  - 2
...

	.end_amdgpu_metadata
